;; amdgpu-corpus repo=ROCm/rocFFT kind=compiled arch=gfx950 opt=O3
	.text
	.amdgcn_target "amdgcn-amd-amdhsa--gfx950"
	.amdhsa_code_object_version 6
	.protected	fft_rtc_back_len1280_factors_16_5_16_wgs_80_tpt_80_halfLds_half_ip_CI_unitstride_sbrr_dirReg ; -- Begin function fft_rtc_back_len1280_factors_16_5_16_wgs_80_tpt_80_halfLds_half_ip_CI_unitstride_sbrr_dirReg
	.globl	fft_rtc_back_len1280_factors_16_5_16_wgs_80_tpt_80_halfLds_half_ip_CI_unitstride_sbrr_dirReg
	.p2align	8
	.type	fft_rtc_back_len1280_factors_16_5_16_wgs_80_tpt_80_halfLds_half_ip_CI_unitstride_sbrr_dirReg,@function
fft_rtc_back_len1280_factors_16_5_16_wgs_80_tpt_80_halfLds_half_ip_CI_unitstride_sbrr_dirReg: ; @fft_rtc_back_len1280_factors_16_5_16_wgs_80_tpt_80_halfLds_half_ip_CI_unitstride_sbrr_dirReg
; %bb.0:
	s_load_dwordx2 s[8:9], s[0:1], 0x50
	s_load_dwordx4 s[4:7], s[0:1], 0x0
	s_load_dwordx2 s[10:11], s[0:1], 0x18
	v_mul_u32_u24_e32 v1, 0x334, v0
	v_add_u32_sdwa v6, s2, v1 dst_sel:DWORD dst_unused:UNUSED_PAD src0_sel:DWORD src1_sel:WORD_1
	v_mov_b32_e32 v4, 0
	s_waitcnt lgkmcnt(0)
	v_cmp_lt_u64_e64 s[2:3], s[6:7], 2
	v_mov_b32_e32 v7, v4
	s_and_b64 vcc, exec, s[2:3]
	v_mov_b64_e32 v[2:3], 0
	s_cbranch_vccnz .LBB0_8
; %bb.1:
	s_load_dwordx2 s[2:3], s[0:1], 0x10
	s_add_u32 s12, s10, 8
	s_addc_u32 s13, s11, 0
	s_mov_b64 s[14:15], 1
	v_mov_b64_e32 v[2:3], 0
	s_waitcnt lgkmcnt(0)
	s_add_u32 s16, s2, 8
	s_addc_u32 s17, s3, 0
.LBB0_2:                                ; =>This Inner Loop Header: Depth=1
	s_load_dwordx2 s[18:19], s[16:17], 0x0
                                        ; implicit-def: $vgpr8_vgpr9
	s_waitcnt lgkmcnt(0)
	v_or_b32_e32 v5, s19, v7
	v_cmp_ne_u64_e32 vcc, 0, v[4:5]
	s_and_saveexec_b64 s[2:3], vcc
	s_xor_b64 s[20:21], exec, s[2:3]
	s_cbranch_execz .LBB0_4
; %bb.3:                                ;   in Loop: Header=BB0_2 Depth=1
	v_cvt_f32_u32_e32 v1, s18
	v_cvt_f32_u32_e32 v5, s19
	s_sub_u32 s2, 0, s18
	s_subb_u32 s3, 0, s19
	v_fmac_f32_e32 v1, 0x4f800000, v5
	v_rcp_f32_e32 v1, v1
	s_nop 0
	v_mul_f32_e32 v1, 0x5f7ffffc, v1
	v_mul_f32_e32 v5, 0x2f800000, v1
	v_trunc_f32_e32 v5, v5
	v_fmac_f32_e32 v1, 0xcf800000, v5
	v_cvt_u32_f32_e32 v5, v5
	v_cvt_u32_f32_e32 v1, v1
	v_mul_lo_u32 v8, s2, v5
	v_mul_hi_u32 v10, s2, v1
	v_mul_lo_u32 v9, s3, v1
	v_add_u32_e32 v10, v10, v8
	v_mul_lo_u32 v12, s2, v1
	v_add_u32_e32 v13, v10, v9
	v_mul_hi_u32 v8, v1, v12
	v_mul_hi_u32 v11, v1, v13
	v_mul_lo_u32 v10, v1, v13
	v_mov_b32_e32 v9, v4
	v_lshl_add_u64 v[8:9], v[8:9], 0, v[10:11]
	v_mul_hi_u32 v11, v5, v12
	v_mul_lo_u32 v12, v5, v12
	v_add_co_u32_e32 v8, vcc, v8, v12
	v_mul_hi_u32 v10, v5, v13
	s_nop 0
	v_addc_co_u32_e32 v8, vcc, v9, v11, vcc
	v_mov_b32_e32 v9, v4
	s_nop 0
	v_addc_co_u32_e32 v11, vcc, 0, v10, vcc
	v_mul_lo_u32 v10, v5, v13
	v_lshl_add_u64 v[8:9], v[8:9], 0, v[10:11]
	v_add_co_u32_e32 v1, vcc, v1, v8
	v_mul_lo_u32 v10, s2, v1
	s_nop 0
	v_addc_co_u32_e32 v5, vcc, v5, v9, vcc
	v_mul_lo_u32 v8, s2, v5
	v_mul_hi_u32 v9, s2, v1
	v_add_u32_e32 v8, v9, v8
	v_mul_lo_u32 v9, s3, v1
	v_add_u32_e32 v12, v8, v9
	v_mul_hi_u32 v14, v5, v10
	v_mul_lo_u32 v15, v5, v10
	v_mul_hi_u32 v9, v1, v12
	v_mul_lo_u32 v8, v1, v12
	v_mul_hi_u32 v10, v1, v10
	v_mov_b32_e32 v11, v4
	v_lshl_add_u64 v[8:9], v[10:11], 0, v[8:9]
	v_add_co_u32_e32 v8, vcc, v8, v15
	v_mul_hi_u32 v13, v5, v12
	s_nop 0
	v_addc_co_u32_e32 v8, vcc, v9, v14, vcc
	v_mul_lo_u32 v10, v5, v12
	s_nop 0
	v_addc_co_u32_e32 v11, vcc, 0, v13, vcc
	v_mov_b32_e32 v9, v4
	v_lshl_add_u64 v[8:9], v[8:9], 0, v[10:11]
	v_add_co_u32_e32 v1, vcc, v1, v8
	v_mul_hi_u32 v10, v6, v1
	s_nop 0
	v_addc_co_u32_e32 v5, vcc, v5, v9, vcc
	v_mad_u64_u32 v[8:9], s[2:3], v6, v5, 0
	v_mov_b32_e32 v11, v4
	v_lshl_add_u64 v[8:9], v[10:11], 0, v[8:9]
	v_mad_u64_u32 v[12:13], s[2:3], v7, v1, 0
	v_add_co_u32_e32 v1, vcc, v8, v12
	v_mad_u64_u32 v[10:11], s[2:3], v7, v5, 0
	s_nop 0
	v_addc_co_u32_e32 v8, vcc, v9, v13, vcc
	v_mov_b32_e32 v9, v4
	s_nop 0
	v_addc_co_u32_e32 v11, vcc, 0, v11, vcc
	v_lshl_add_u64 v[8:9], v[8:9], 0, v[10:11]
	v_mul_lo_u32 v1, s19, v8
	v_mul_lo_u32 v5, s18, v9
	v_mad_u64_u32 v[10:11], s[2:3], s18, v8, 0
	v_add3_u32 v1, v11, v5, v1
	v_sub_u32_e32 v5, v7, v1
	v_mov_b32_e32 v11, s19
	v_sub_co_u32_e32 v14, vcc, v6, v10
	v_lshl_add_u64 v[12:13], v[8:9], 0, 1
	s_nop 0
	v_subb_co_u32_e64 v5, s[2:3], v5, v11, vcc
	v_subrev_co_u32_e64 v10, s[2:3], s18, v14
	v_subb_co_u32_e32 v1, vcc, v7, v1, vcc
	s_nop 0
	v_subbrev_co_u32_e64 v5, s[2:3], 0, v5, s[2:3]
	v_cmp_le_u32_e64 s[2:3], s19, v5
	v_cmp_le_u32_e32 vcc, s19, v1
	s_nop 0
	v_cndmask_b32_e64 v11, 0, -1, s[2:3]
	v_cmp_le_u32_e64 s[2:3], s18, v10
	s_nop 1
	v_cndmask_b32_e64 v10, 0, -1, s[2:3]
	v_cmp_eq_u32_e64 s[2:3], s19, v5
	s_nop 1
	v_cndmask_b32_e64 v5, v11, v10, s[2:3]
	v_lshl_add_u64 v[10:11], v[8:9], 0, 2
	v_cmp_ne_u32_e64 s[2:3], 0, v5
	s_nop 1
	v_cndmask_b32_e64 v5, v13, v11, s[2:3]
	v_cndmask_b32_e64 v11, 0, -1, vcc
	v_cmp_le_u32_e32 vcc, s18, v14
	s_nop 1
	v_cndmask_b32_e64 v13, 0, -1, vcc
	v_cmp_eq_u32_e32 vcc, s19, v1
	s_nop 1
	v_cndmask_b32_e32 v1, v11, v13, vcc
	v_cmp_ne_u32_e32 vcc, 0, v1
	v_cndmask_b32_e64 v1, v12, v10, s[2:3]
	s_nop 0
	v_cndmask_b32_e32 v9, v9, v5, vcc
	v_cndmask_b32_e32 v8, v8, v1, vcc
.LBB0_4:                                ;   in Loop: Header=BB0_2 Depth=1
	s_andn2_saveexec_b64 s[2:3], s[20:21]
	s_cbranch_execz .LBB0_6
; %bb.5:                                ;   in Loop: Header=BB0_2 Depth=1
	v_cvt_f32_u32_e32 v1, s18
	s_sub_i32 s20, 0, s18
	v_rcp_iflag_f32_e32 v1, v1
	s_nop 0
	v_mul_f32_e32 v1, 0x4f7ffffe, v1
	v_cvt_u32_f32_e32 v1, v1
	v_mul_lo_u32 v5, s20, v1
	v_mul_hi_u32 v5, v1, v5
	v_add_u32_e32 v1, v1, v5
	v_mul_hi_u32 v1, v6, v1
	v_mul_lo_u32 v5, v1, s18
	v_sub_u32_e32 v5, v6, v5
	v_add_u32_e32 v8, 1, v1
	v_subrev_u32_e32 v9, s18, v5
	v_cmp_le_u32_e32 vcc, s18, v5
	s_nop 1
	v_cndmask_b32_e32 v5, v5, v9, vcc
	v_cndmask_b32_e32 v1, v1, v8, vcc
	v_add_u32_e32 v8, 1, v1
	v_cmp_le_u32_e32 vcc, s18, v5
	v_mov_b32_e32 v9, v4
	s_nop 0
	v_cndmask_b32_e32 v8, v1, v8, vcc
.LBB0_6:                                ;   in Loop: Header=BB0_2 Depth=1
	s_or_b64 exec, exec, s[2:3]
	v_mad_u64_u32 v[10:11], s[2:3], v8, s18, 0
	s_load_dwordx2 s[2:3], s[12:13], 0x0
	v_mul_lo_u32 v1, v9, s18
	v_mul_lo_u32 v5, v8, s19
	v_add3_u32 v1, v11, v5, v1
	v_sub_co_u32_e32 v5, vcc, v6, v10
	s_add_u32 s14, s14, 1
	s_nop 0
	v_subb_co_u32_e32 v1, vcc, v7, v1, vcc
	s_addc_u32 s15, s15, 0
	s_waitcnt lgkmcnt(0)
	v_mul_lo_u32 v1, s2, v1
	v_mul_lo_u32 v6, s3, v5
	v_mad_u64_u32 v[2:3], s[2:3], s2, v5, v[2:3]
	s_add_u32 s12, s12, 8
	v_add3_u32 v3, v6, v3, v1
	s_addc_u32 s13, s13, 0
	v_mov_b64_e32 v[6:7], s[6:7]
	s_add_u32 s16, s16, 8
	v_cmp_ge_u64_e32 vcc, s[14:15], v[6:7]
	s_addc_u32 s17, s17, 0
	s_cbranch_vccnz .LBB0_9
; %bb.7:                                ;   in Loop: Header=BB0_2 Depth=1
	v_mov_b64_e32 v[6:7], v[8:9]
	s_branch .LBB0_2
.LBB0_8:
	v_mov_b64_e32 v[8:9], v[6:7]
.LBB0_9:
	s_lshl_b64 s[2:3], s[6:7], 3
	s_add_u32 s2, s10, s2
	s_addc_u32 s3, s11, s3
	s_load_dwordx2 s[6:7], s[2:3], 0x0
	s_load_dwordx2 s[10:11], s[0:1], 0x20
	s_mov_b32 s2, 0x3333334
	v_mov_b32_e32 v14, 0
	v_mov_b32_e32 v18, 0
	s_waitcnt lgkmcnt(0)
	v_mul_lo_u32 v1, s6, v9
	v_mul_lo_u32 v4, s7, v8
	v_mad_u64_u32 v[2:3], s[0:1], s6, v8, v[2:3]
	v_add3_u32 v3, v4, v3, v1
	v_mul_hi_u32 v1, v0, s2
	v_mul_u32_u24_e32 v1, 0x50, v1
	v_cmp_gt_u64_e64 s[0:1], s[10:11], v[8:9]
	v_sub_u32_e32 v0, v0, v1
	v_lshl_add_u64 v[12:13], v[2:3], 2, s[8:9]
	v_mov_b32_e32 v1, 0
	v_mov_b32_e32 v15, 0
	;; [unrolled: 1-line block ×7, first 2 shown]
                                        ; implicit-def: $vgpr3
                                        ; implicit-def: $vgpr4
                                        ; implicit-def: $vgpr17
                                        ; implicit-def: $vgpr11
                                        ; implicit-def: $vgpr10
                                        ; implicit-def: $vgpr9
                                        ; implicit-def: $vgpr20
                                        ; implicit-def: $vgpr19
                                        ; implicit-def: $vgpr21
	s_and_saveexec_b64 s[2:3], s[0:1]
	s_cbranch_execz .LBB0_11
; %bb.10:
	v_mov_b32_e32 v1, 0
	v_lshl_add_u64 v[22:23], v[0:1], 2, v[12:13]
	global_load_dword v1, v[22:23], off
	global_load_dword v6, v[22:23], off offset:320
	global_load_dword v15, v[22:23], off offset:640
	;; [unrolled: 1-line block ×8, first 2 shown]
	v_add_co_u32_e32 v24, vcc, 0x1000, v22
	s_mov_b32 s6, 0xffff
	s_nop 0
	v_addc_co_u32_e32 v25, vcc, 0, v23, vcc
	global_load_dword v9, v[24:25], off offset:704
	global_load_dword v19, v[24:25], off offset:384
	;; [unrolled: 1-line block ×7, first 2 shown]
	v_mov_b32_e32 v14, v0
	s_waitcnt vmcnt(7)
	v_lshrrev_b32_e32 v3, 16, v8
	s_waitcnt vmcnt(3)
	v_bfi_b32 v21, s6, v8, v4
.LBB0_11:
	s_or_b64 exec, exec, s[2:3]
	s_mov_b32 s2, 0xffff
	s_waitcnt vmcnt(1)
	v_pk_add_f16 v20, v15, v20 op_sel:[1,1] op_sel_hi:[0,0] neg_lo:[0,1] neg_hi:[0,1]
	v_bfi_b32 v8, s2, v1, v18
	v_lshrrev_b32_e32 v22, 16, v15
	v_lshrrev_b32_e32 v27, 16, v20
	v_pk_add_f16 v19, v16, v19 neg_lo:[0,1] neg_hi:[0,1]
	v_pk_add_f16 v29, v8, v21 neg_lo:[0,1] neg_hi:[0,1]
	v_fma_f16 v15, v15, 2.0, -v27
	v_fma_f16 v30, v22, 2.0, -v20
	v_lshrrev_b32_e32 v22, 16, v16
	v_fma_f16 v16, v16, 2.0, -v19
	v_lshrrev_b32_e32 v28, 16, v19
	v_alignbit_b32 v25, s0, v29, 16
	v_fma_f16 v22, v22, 2.0, -v28
	v_sub_f16_e32 v31, v15, v16
	v_pk_add_f16 v16, v20, v19 neg_lo:[0,1] neg_hi:[0,1]
	v_pk_add_f16 v19, v20, v19
	v_pk_add_f16 v25, v29, v25
	v_sub_f16_e32 v32, v30, v22
	v_bfi_b32 v22, s2, v16, v19
	v_lshrrev_b32_e32 v19, 16, v19
	v_fma_f16 v26, v29, 2.0, -v25
	v_fma_f16 v19, v27, 2.0, -v19
	s_mov_b32 s9, 0xb9a8
	v_fma_f16 v16, v20, 2.0, -v16
	s_movk_i32 s3, 0x39a8
	v_mul_f16_e32 v33, 0x39a8, v19
	v_fma_f16 v19, v19, s9, v26
	v_mul_f16_e32 v35, 0x39a8, v16
	v_fma_f16 v16, v16, s3, v19
	v_pk_add_f16 v11, v7, v11 neg_lo:[0,1] neg_hi:[0,1]
	v_lshrrev_b32_e32 v23, 16, v6
	v_fma_f16 v19, v26, 2.0, -v16
	s_waitcnt vmcnt(0)
	v_pk_add_f16 v17, v6, v17 op_sel:[1,1] op_sel_hi:[0,0] neg_lo:[0,1] neg_hi:[0,1]
	v_lshrrev_b32_e32 v26, 16, v7
	v_lshrrev_b32_e32 v27, 16, v11
	v_pk_add_f16 v10, v2, v10 op_sel:[1,1] op_sel_hi:[0,0] neg_lo:[0,1] neg_hi:[0,1]
	v_pk_mul_f16 v34, v22, s3 op_sel_hi:[1,0]
	v_lshrrev_b32_e32 v22, 16, v17
	v_fma_f16 v23, v23, 2.0, -v17
	v_fma_f16 v26, v26, 2.0, -v27
	v_lshrrev_b32_e32 v27, 16, v10
	v_pk_add_f16 v9, v5, v9 neg_lo:[0,1] neg_hi:[0,1]
	v_lshrrev_b32_e32 v24, 16, v2
	v_fma_f16 v6, v6, 2.0, -v22
	v_fma_f16 v7, v7, 2.0, -v11
	;; [unrolled: 1-line block ×3, first 2 shown]
	v_lshrrev_b32_e32 v28, 16, v5
	v_fma_f16 v5, v5, 2.0, -v9
	v_lshrrev_b32_e32 v36, 16, v9
	v_sub_f16_e32 v26, v23, v26
	v_fma_f16 v28, v28, 2.0, -v36
	v_sub_f16_e32 v7, v6, v7
	v_fma_f16 v36, v23, 2.0, -v26
	v_pk_add_f16 v23, v17, v11 neg_lo:[0,1] neg_hi:[0,1]
	v_pk_add_f16 v11, v17, v11
	v_sub_f16_e32 v5, v2, v5
	v_pk_add_f16 v37, v10, v9 neg_lo:[0,1] neg_hi:[0,1]
	v_pk_add_f16 v9, v10, v9
	v_sub_f16_e32 v4, v18, v4
	v_fma_f16 v24, v24, 2.0, -v10
	v_fma_f16 v6, v6, 2.0, -v7
	v_bfi_b32 v40, s2, v23, v11
	v_lshrrev_b32_e32 v11, 16, v11
	v_fma_f16 v2, v2, 2.0, -v5
	v_bfi_b32 v41, s2, v37, v9
	v_lshrrev_b32_e32 v9, 16, v9
	v_fma_f16 v21, v1, 2.0, -v29
	v_fma_f16 v18, v18, 2.0, -v4
	;; [unrolled: 1-line block ×3, first 2 shown]
	v_sub_f16_e32 v28, v24, v28
	v_fma_f16 v9, v27, 2.0, -v9
	v_fma_f16 v10, v10, 2.0, -v37
	v_sub_f16_e32 v37, v6, v2
	v_sub_f16_e32 v18, v21, v18
	v_fma_f16 v17, v17, 2.0, -v23
	v_fma_f16 v24, v24, 2.0, -v28
	;; [unrolled: 1-line block ×3, first 2 shown]
	v_fma_f16 v6, v9, s9, v22
	v_fma_f16 v21, v21, 2.0, -v18
	v_fma_f16 v15, v15, 2.0, -v31
	v_sub_f16_e32 v42, v36, v24
	v_fma_f16 v24, v10, s9, v17
	v_fma_f16 v38, v10, s3, v6
	v_add_f16_e32 v6, v7, v28
	v_sub_f16_e32 v15, v21, v15
	v_fma_f16 v39, v9, s9, v24
	v_fma_f16 v10, v7, 2.0, -v6
	v_pk_mul_f16 v7, v41, s3 op_sel_hi:[1,0]
	v_pk_fma_f16 v9, v41, s3, v40 op_sel_hi:[1,0,1]
	v_fma_f16 v20, v21, 2.0, -v15
	v_alignbit_b32 v21, s0, v34, 16
	v_pk_add_f16 v40, v9, v7 op_sel:[0,1] op_sel_hi:[1,0] neg_lo:[0,1] neg_hi:[0,1]
	v_pk_add_f16 v7, v9, v7 op_sel:[0,1] op_sel_hi:[1,0]
	v_pk_add_f16 v21, v25, v21
	v_sub_f16_e32 v5, v26, v5
	v_bfi_b32 v9, s2, v40, v7
	s_mov_b32 s10, 0x3b64361f
	v_fma_f16 v45, v17, 2.0, -v39
	v_fma_f16 v17, v26, 2.0, -v5
	v_mul_f16_e32 v48, 0x39a8, v6
	v_mul_f16_e32 v49, 0x39a8, v5
	v_pk_mul_f16 v5, v9, s10
	v_pack_b32_f16 v6, v18, v34
	v_pack_b32_f16 v9, v32, v21
	v_pk_add_f16 v6, v6, v9
	v_lshrrev_b32_e32 v41, 16, v7
	v_fma_f16 v9, v18, 2.0, -v6
	v_lshrrev_b32_e32 v18, 16, v6
	v_fma_f16 v43, v22, 2.0, -v38
	v_fma_f16 v46, v11, 2.0, -v41
	s_mov_b32 s6, 0xbb64
	v_fma_f16 v18, v25, 2.0, -v18
	v_fma_f16 v21, v10, s9, v9
	s_mov_b32 s9, 0xb61f
	v_fma_f16 v47, v23, 2.0, -v40
	v_fma_f16 v11, v43, s6, v19
	s_movk_i32 s7, 0x361f
	s_movk_i32 s8, 0x3b64
	v_fma_f16 v23, v46, s9, v18
	v_bfi_b32 v24, s2, v48, v5
	v_sub_f16_e32 v2, v20, v2
	v_fma_f16 v11, v45, s7, v11
	v_fma_f16 v22, v38, s7, v16
	;; [unrolled: 1-line block ×4, first 2 shown]
	v_pk_add_f16 v24, v6, v24
	v_pack_b32_f16 v5, v49, v5
	v_fma_f16 v7, v20, 2.0, -v2
	v_fma_f16 v19, v19, 2.0, -v11
	v_add_f16_e32 v20, v15, v42
	v_fma_f16 v22, v39, s8, v22
	v_fma_f16 v9, v9, 2.0, -v21
	v_fma_f16 v18, v18, 2.0, -v23
	v_pk_add_f16 v52, v5, v24
	v_fma_f16 v15, v15, 2.0, -v20
	v_fma_f16 v16, v16, 2.0, -v22
	v_lshl_add_u32 v44, v0, 5, 0
	v_pk_fma_f16 v5, v6, 2.0, v52 op_sel_hi:[1,0,1] neg_lo:[0,0,1] neg_hi:[0,0,1]
	v_pack_b32_f16 v6, v7, v19
	v_pack_b32_f16 v7, v9, v18
	ds_write2_b32 v44, v6, v7 offset1:1
	v_pack_b32_f16 v6, v15, v16
	ds_write2_b32 v44, v6, v5 offset0:2 offset1:3
	v_pack_b32_f16 v5, v21, v23
	v_pack_b32_f16 v2, v2, v11
	s_movk_i32 s2, 0xffe2
	ds_write2_b32 v44, v2, v5 offset0:4 offset1:5
	v_pack_b32_f16 v2, v20, v22
	v_mad_i32_i24 v11, v0, s2, v44
	ds_write2_b32 v44, v2, v52 offset0:6 offset1:7
	s_waitcnt lgkmcnt(0)
	s_barrier
	ds_read_u16 v5, v11
	ds_read_u16 v6, v11 offset:160
	ds_read_u16 v24, v11 offset:672
	;; [unrolled: 1-line block ×14, first 2 shown]
	v_mul_f16_e32 v50, 0x39a8, v10
	v_mul_f16_e32 v51, 0x39a8, v17
	v_lshrrev_b32_e32 v2, 16, v52
	v_cmp_gt_u32_e32 vcc, 16, v0
                                        ; implicit-def: $vgpr10
                                        ; implicit-def: $vgpr17
                                        ; implicit-def: $vgpr18
                                        ; implicit-def: $vgpr20
	s_and_saveexec_b64 s[2:3], vcc
	s_cbranch_execz .LBB0_13
; %bb.12:
	ds_read_u16 v2, v11 offset:480
	ds_read_u16 v20, v11 offset:992
	;; [unrolled: 1-line block ×5, first 2 shown]
.LBB0_13:
	s_or_b64 exec, exec, s[2:3]
	v_lshrrev_b32_e32 v1, 16, v1
	v_sub_f16_e32 v3, v1, v3
	v_lshrrev_b32_e32 v8, 16, v8
	v_lshrrev_b32_e32 v29, 16, v29
	v_fma_f16 v1, v1, 2.0, -v3
	v_fma_f16 v8, v8, 2.0, -v29
	v_sub_f16_e32 v8, v1, v8
	v_sub_f16_e32 v4, v3, v4
	v_fma_f16 v1, v1, 2.0, -v8
	v_fma_f16 v3, v3, 2.0, -v4
	;; [unrolled: 1-line block ×3, first 2 shown]
	v_sub_f16_e32 v29, v1, v29
	v_sub_f16_e32 v30, v3, v35
	v_fma_f16 v1, v1, 2.0, -v29
	v_sub_f16_e32 v30, v30, v33
	v_fma_f16 v33, v36, 2.0, -v42
	v_fma_f16 v3, v3, 2.0, -v30
	v_sub_f16_e32 v31, v8, v31
	v_add_f16_e32 v32, v4, v34
	v_sub_f16_e32 v33, v1, v33
	v_fma_f16 v8, v8, 2.0, -v31
	v_sub_f16_sdwa v32, v32, v34 dst_sel:DWORD dst_unused:UNUSED_PAD src0_sel:DWORD src1_sel:WORD_1
	v_fma_f16 v34, v1, 2.0, -v33
	v_fma_f16 v1, v45, s6, v3
	v_fma_f16 v4, v4, 2.0, -v32
	v_fma_f16 v35, v43, s9, v1
	v_sub_f16_e32 v1, v8, v51
	v_sub_f16_e32 v36, v1, v50
	v_fma_f16 v1, v47, s9, v4
	v_fma_f16 v42, v46, s6, v1
	;; [unrolled: 1-line block ×4, first 2 shown]
	v_add_f16_e32 v1, v31, v49
	v_sub_f16_e32 v39, v1, v48
	v_fma_f16 v1, v40, s8, v32
	v_fma_f16 v3, v3, 2.0, -v35
	v_fma_f16 v8, v8, 2.0, -v36
	;; [unrolled: 1-line block ×3, first 2 shown]
	v_sub_f16_e32 v37, v29, v37
	v_fma_f16 v1, v41, s9, v1
	v_fma_f16 v29, v29, 2.0, -v37
	v_fma_f16 v30, v30, 2.0, -v38
	;; [unrolled: 1-line block ×4, first 2 shown]
	v_pack_b32_f16 v4, v8, v4
	v_pack_b32_f16 v3, v34, v3
	s_waitcnt lgkmcnt(0)
	s_barrier
	ds_write2_b32 v44, v3, v4 offset1:1
	v_pack_b32_f16 v3, v31, v32
	v_pack_b32_f16 v4, v29, v30
	ds_write2_b32 v44, v4, v3 offset0:2 offset1:3
	v_pack_b32_f16 v3, v36, v42
	v_pack_b32_f16 v4, v33, v35
	ds_write2_b32 v44, v4, v3 offset0:4 offset1:5
	v_pack_b32_f16 v3, v39, v1
	v_pack_b32_f16 v4, v37, v38
	ds_write2_b32 v44, v4, v3 offset0:6 offset1:7
	s_waitcnt lgkmcnt(0)
	s_barrier
	ds_read_u16 v8, v11
	ds_read_u16 v4, v11 offset:160
	ds_read_u16 v42, v11 offset:672
	;; [unrolled: 1-line block ×14, first 2 shown]
                                        ; implicit-def: $vgpr32
                                        ; implicit-def: $vgpr34
                                        ; implicit-def: $vgpr33
                                        ; implicit-def: $vgpr36
	s_and_saveexec_b64 s[2:3], vcc
	s_cbranch_execz .LBB0_15
; %bb.14:
	ds_read_u16 v1, v11 offset:480
	ds_read_u16 v36, v11 offset:992
	;; [unrolled: 1-line block ×5, first 2 shown]
.LBB0_15:
	s_or_b64 exec, exec, s[2:3]
	v_and_b32_e32 v60, 15, v0
	v_lshlrev_b32_e32 v43, 4, v60
	global_load_dwordx4 v[52:55], v43, s[4:5]
	v_lshlrev_b32_e32 v43, 4, v0
	v_and_b32_e32 v43, 0xf0, v43
	global_load_dwordx4 v[56:59], v43, s[4:5]
	s_mov_b32 s7, 0xbb9c
	s_movk_i32 s9, 0x3b9c
	s_mov_b32 s6, 0xb8b4
	s_movk_i32 s10, 0x38b4
	s_movk_i32 s8, 0x34f2
	s_waitcnt lgkmcnt(0)
	s_barrier
	s_waitcnt vmcnt(1)
	v_mul_f16_sdwa v43, v38, v52 dst_sel:DWORD dst_unused:UNUSED_PAD src0_sel:DWORD src1_sel:WORD_1
	v_mul_f16_sdwa v46, v27, v52 dst_sel:DWORD dst_unused:UNUSED_PAD src0_sel:DWORD src1_sel:WORD_1
	;; [unrolled: 1-line block ×7, first 2 shown]
	v_fma_f16 v47, v27, v52, v43
	v_mul_f16_sdwa v27, v26, v55 dst_sel:DWORD dst_unused:UNUSED_PAD src0_sel:DWORD src1_sel:WORD_1
	v_fma_f16 v38, v38, v52, -v46
	v_mul_f16_sdwa v63, v42, v52 dst_sel:DWORD dst_unused:UNUSED_PAD src0_sel:DWORD src1_sel:WORD_1
	v_fma_f16 v49, v25, v53, v48
	v_mul_f16_sdwa v25, v24, v52 dst_sel:DWORD dst_unused:UNUSED_PAD src0_sel:DWORD src1_sel:WORD_1
	v_fma_f16 v43, v39, v53, -v50
	v_mul_f16_sdwa v48, v37, v53 dst_sel:DWORD dst_unused:UNUSED_PAD src0_sel:DWORD src1_sel:WORD_1
	;; [unrolled: 4-line block ×4, first 2 shown]
	v_fma_f16 v39, v24, v52, v63
	v_mul_f16_sdwa v62, v23, v55 dst_sel:DWORD dst_unused:UNUSED_PAD src0_sel:DWORD src1_sel:WORD_1
	v_fma_f16 v24, v42, v52, -v25
	v_fma_f16 v42, v22, v53, v48
	v_fma_f16 v25, v37, v53, -v28
	v_mul_f16_sdwa v28, v40, v53 dst_sel:DWORD dst_unused:UNUSED_PAD src0_sel:DWORD src1_sel:WORD_1
	v_fma_f16 v45, v19, v54, v61
	v_mul_f16_sdwa v19, v21, v53 dst_sel:DWORD dst_unused:UNUSED_PAD src0_sel:DWORD src1_sel:WORD_1
	v_fma_f16 v26, v35, v54, -v26
	v_mul_f16_sdwa v35, v31, v54 dst_sel:DWORD dst_unused:UNUSED_PAD src0_sel:DWORD src1_sel:WORD_1
	v_fma_f16 v48, v23, v55, v27
	v_mul_f16_sdwa v27, v16, v54 dst_sel:DWORD dst_unused:UNUSED_PAD src0_sel:DWORD src1_sel:WORD_1
	v_mul_f16_sdwa v63, v30, v52 dst_sel:DWORD dst_unused:UNUSED_PAD src0_sel:DWORD src1_sel:WORD_1
	;; [unrolled: 1-line block ×3, first 2 shown]
	v_fma_f16 v37, v41, v55, -v62
	v_mul_f16_sdwa v41, v29, v55 dst_sel:DWORD dst_unused:UNUSED_PAD src0_sel:DWORD src1_sel:WORD_1
	v_mul_f16_sdwa v61, v9, v55 dst_sel:DWORD dst_unused:UNUSED_PAD src0_sel:DWORD src1_sel:WORD_1
	v_fma_f16 v23, v21, v53, v28
	v_fma_f16 v19, v40, v53, -v19
	v_fma_f16 v35, v16, v54, v35
	s_waitcnt vmcnt(0)
	v_mul_f16_sdwa v53, v18, v57 dst_sel:DWORD dst_unused:UNUSED_PAD src0_sel:DWORD src1_sel:WORD_1
	v_fma_f16 v16, v31, v54, -v27
	v_mul_f16_sdwa v54, v34, v58 dst_sel:DWORD dst_unused:UNUSED_PAD src0_sel:DWORD src1_sel:WORD_1
	v_fma_f16 v22, v15, v52, v63
	v_fma_f16 v15, v30, v52, -v64
	v_mul_f16_sdwa v30, v36, v56 dst_sel:DWORD dst_unused:UNUSED_PAD src0_sel:DWORD src1_sel:WORD_1
	v_mul_f16_sdwa v28, v20, v56 dst_sel:DWORD dst_unused:UNUSED_PAD src0_sel:DWORD src1_sel:WORD_1
	;; [unrolled: 1-line block ×3, first 2 shown]
	v_fma_f16 v40, v9, v55, v41
	v_mul_f16_sdwa v41, v17, v58 dst_sel:DWORD dst_unused:UNUSED_PAD src0_sel:DWORD src1_sel:WORD_1
	v_fma_f16 v21, v29, v55, -v61
	v_mul_f16_sdwa v29, v32, v59 dst_sel:DWORD dst_unused:UNUSED_PAD src0_sel:DWORD src1_sel:WORD_1
	v_mul_f16_sdwa v55, v10, v59 dst_sel:DWORD dst_unused:UNUSED_PAD src0_sel:DWORD src1_sel:WORD_1
	v_fma_f16 v27, v33, v57, -v53
	v_fma_f16 v33, v17, v58, v54
	v_add_f16_e32 v17, v49, v50
	v_fma_f16 v31, v20, v56, v30
	v_fma_f16 v9, v36, v56, -v28
	v_fma_f16 v30, v18, v57, v52
	v_fma_f16 v28, v34, v58, -v41
	;; [unrolled: 2-line block ×3, first 2 shown]
	v_sub_f16_e32 v18, v38, v46
	v_sub_f16_e32 v29, v47, v49
	v_sub_f16_e32 v32, v51, v50
	v_fma_f16 v17, v17, -0.5, v5
	v_sub_f16_e32 v20, v43, v44
	v_add_f16_e32 v29, v29, v32
	v_fma_f16 v32, v18, s7, v17
	v_fma_f16 v17, v18, s9, v17
	v_add_f16_e32 v36, v47, v51
	v_fma_f16 v32, v20, s6, v32
	v_fma_f16 v17, v20, s10, v17
	;; [unrolled: 1-line block ×4, first 2 shown]
	v_fma_f16 v29, v36, -0.5, v5
	v_fma_f16 v36, v20, s9, v29
	v_fma_f16 v20, v20, s7, v29
	;; [unrolled: 1-line block ×3, first 2 shown]
	v_sub_f16_e32 v41, v49, v47
	v_sub_f16_e32 v52, v50, v51
	v_fma_f16 v18, v18, s10, v20
	v_add_f16_e32 v20, v42, v45
	v_add_f16_e32 v41, v41, v52
	v_fma_f16 v20, v20, -0.5, v6
	v_sub_f16_e32 v29, v24, v37
	v_fma_f16 v36, v41, s8, v36
	v_fma_f16 v18, v41, s8, v18
	;; [unrolled: 1-line block ×3, first 2 shown]
	v_sub_f16_e32 v52, v25, v26
	v_sub_f16_e32 v53, v39, v42
	;; [unrolled: 1-line block ×3, first 2 shown]
	v_fma_f16 v20, v29, s9, v20
	v_fma_f16 v41, v52, s6, v41
	v_add_f16_e32 v53, v53, v54
	v_fma_f16 v20, v52, s10, v20
	v_fma_f16 v41, v53, s8, v41
	;; [unrolled: 1-line block ×3, first 2 shown]
	v_add_f16_e32 v53, v39, v48
	v_fma_f16 v53, v53, -0.5, v6
	v_add_f16_e32 v5, v5, v47
	v_fma_f16 v54, v52, s9, v53
	v_fma_f16 v52, v52, s7, v53
	v_add_f16_e32 v5, v5, v49
	v_fma_f16 v54, v29, s6, v54
	v_sub_f16_e32 v55, v42, v39
	v_sub_f16_e32 v56, v45, v48
	v_fma_f16 v29, v29, s10, v52
	v_add_f16_e32 v52, v23, v35
	v_add_f16_e32 v5, v5, v50
	;; [unrolled: 1-line block ×3, first 2 shown]
	v_fma_f16 v52, v52, -0.5, v7
	v_sub_f16_e32 v53, v15, v21
	v_add_f16_e32 v61, v5, v51
	v_add_f16_e32 v5, v6, v39
	v_fma_f16 v54, v55, s8, v54
	v_fma_f16 v29, v55, s8, v29
	;; [unrolled: 1-line block ×3, first 2 shown]
	v_sub_f16_e32 v56, v19, v16
	v_sub_f16_e32 v57, v22, v23
	;; [unrolled: 1-line block ×3, first 2 shown]
	v_fma_f16 v52, v53, s9, v52
	v_add_f16_e32 v5, v5, v42
	v_fma_f16 v55, v56, s6, v55
	v_add_f16_e32 v57, v57, v58
	;; [unrolled: 2-line block ×3, first 2 shown]
	v_fma_f16 v55, v57, s8, v55
	v_fma_f16 v52, v57, s8, v52
	v_add_f16_e32 v57, v22, v40
	v_add_f16_e32 v62, v5, v48
	;; [unrolled: 1-line block ×3, first 2 shown]
	v_fma_f16 v57, v57, -0.5, v7
	v_sub_f16_e32 v58, v23, v22
	v_sub_f16_e32 v59, v35, v40
	v_add_f16_e32 v5, v5, v23
	v_add_f16_e32 v58, v58, v59
	v_fma_f16 v59, v56, s9, v57
	v_fma_f16 v56, v56, s7, v57
	v_add_f16_e32 v5, v5, v35
	v_add_u32_e32 v57, 0x50, v0
	v_fma_f16 v59, v53, s6, v59
	v_fma_f16 v53, v53, s10, v56
	v_add_u32_e32 v56, 0xa0, v0
	v_add_f16_e32 v63, v5, v40
	v_lshrrev_b32_e32 v5, 4, v0
	v_mul_u32_u24_e32 v5, 0x50, v5
	v_lshrrev_b32_e32 v6, 4, v57
	v_lshrrev_b32_e32 v7, 4, v56
	v_or_b32_e32 v5, v5, v60
	v_mul_u32_u24_e32 v6, 0x50, v6
	v_mul_u32_u24_e32 v7, 0x50, v7
	v_lshl_add_u32 v5, v5, 1, 0
	v_or_b32_e32 v6, v6, v60
	v_or_b32_e32 v7, v7, v60
	ds_write_b16 v5, v61
	ds_write_b16 v5, v32 offset:32
	ds_write_b16 v5, v36 offset:64
	;; [unrolled: 1-line block ×4, first 2 shown]
	v_lshl_add_u32 v6, v6, 1, 0
	v_lshl_add_u32 v7, v7, 1, 0
	;; [unrolled: 1-line block ×3, first 2 shown]
	v_fma_f16 v59, v58, s8, v59
	v_fma_f16 v53, v58, s8, v53
	ds_write_b16 v6, v62
	ds_write_b16 v6, v41 offset:32
	ds_write_b16 v6, v54 offset:64
	;; [unrolled: 1-line block ×4, first 2 shown]
	ds_write_b16 v7, v63
	ds_write_b16 v7, v55 offset:32
	ds_write_b16 v7, v59 offset:64
	;; [unrolled: 1-line block ×4, first 2 shown]
	s_and_saveexec_b64 s[2:3], vcc
	s_cbranch_execz .LBB0_17
; %bb.16:
	v_add_f16_e32 v20, v31, v34
	v_sub_f16_e32 v17, v30, v31
	v_sub_f16_e32 v18, v33, v34
	v_fma_f16 v20, v20, -0.5, v2
	v_sub_f16_e32 v29, v27, v28
	v_add_f16_e32 v17, v17, v18
	v_sub_f16_e32 v18, v9, v10
	v_fma_f16 v32, v29, s7, v20
	v_fma_f16 v20, v29, s9, v20
	;; [unrolled: 1-line block ×6, first 2 shown]
	v_sub_f16_e32 v20, v31, v30
	v_sub_f16_e32 v41, v34, v33
	v_add_f16_e32 v20, v20, v41
	v_add_f16_e32 v41, v30, v33
	v_fma_f16 v41, v41, -0.5, v2
	v_add_f16_e32 v2, v2, v31
	v_add_f16_e32 v2, v2, v30
	v_fma_f16 v52, v18, s9, v41
	v_fma_f16 v18, v18, s7, v41
	v_add_f16_e32 v2, v2, v33
	v_fma_f16 v52, v29, s10, v52
	v_fma_f16 v18, v29, s6, v18
	;; [unrolled: 3-line block ×3, first 2 shown]
	ds_write_b16 v36, v2 offset:2400
	ds_write_b16 v36, v18 offset:2432
	;; [unrolled: 1-line block ×5, first 2 shown]
.LBB0_17:
	s_or_b64 exec, exec, s[2:3]
	v_add_f16_e32 v17, v43, v44
	v_fma_f16 v17, v17, -0.5, v8
	v_sub_f16_e32 v18, v47, v51
	v_fma_f16 v20, v18, s9, v17
	v_sub_f16_e32 v29, v49, v50
	v_sub_f16_e32 v32, v38, v43
	;; [unrolled: 1-line block ×3, first 2 shown]
	v_fma_f16 v17, v18, s7, v17
	v_add_f16_e32 v32, v32, v41
	v_fma_f16 v17, v29, s6, v17
	v_fma_f16 v47, v32, s8, v17
	v_add_f16_e32 v17, v38, v46
	v_add_f16_e32 v2, v8, v38
	v_fma_f16 v20, v29, s10, v20
	v_fma_f16 v8, v17, -0.5, v8
	v_fma_f16 v41, v32, s8, v20
	v_fma_f16 v17, v29, s7, v8
	v_sub_f16_e32 v20, v43, v38
	v_sub_f16_e32 v32, v44, v46
	v_fma_f16 v17, v18, s10, v17
	v_add_f16_e32 v20, v20, v32
	v_fma_f16 v38, v20, s8, v17
	v_add_f16_e32 v17, v4, v24
	v_add_f16_e32 v17, v17, v25
	;; [unrolled: 1-line block ×4, first 2 shown]
	v_fma_f16 v8, v29, s9, v8
	v_add_f16_e32 v43, v17, v37
	v_add_f16_e32 v17, v25, v26
	v_fma_f16 v8, v18, s6, v8
	v_fma_f16 v17, v17, -0.5, v4
	v_sub_f16_e32 v18, v39, v48
	v_fma_f16 v8, v20, s8, v8
	v_fma_f16 v20, v18, s9, v17
	v_sub_f16_e32 v29, v42, v45
	v_sub_f16_e32 v32, v24, v25
	;; [unrolled: 1-line block ×3, first 2 shown]
	v_fma_f16 v17, v18, s7, v17
	v_add_f16_e32 v32, v32, v39
	v_fma_f16 v17, v29, s6, v17
	v_fma_f16 v42, v32, s8, v17
	v_add_f16_e32 v17, v24, v37
	v_fma_f16 v20, v29, s10, v20
	v_fma_f16 v4, v17, -0.5, v4
	v_fma_f16 v39, v32, s8, v20
	v_fma_f16 v17, v29, s7, v4
	v_sub_f16_e32 v20, v25, v24
	v_sub_f16_e32 v24, v26, v37
	v_fma_f16 v17, v18, s10, v17
	v_add_f16_e32 v20, v20, v24
	v_add_f16_e32 v2, v2, v44
	v_fma_f16 v44, v20, s8, v17
	v_add_f16_e32 v17, v3, v15
	v_add_f16_e32 v17, v17, v19
	;; [unrolled: 1-line block ×3, first 2 shown]
	v_fma_f16 v4, v29, s9, v4
	v_add_f16_e32 v45, v17, v21
	v_add_f16_e32 v17, v19, v16
	v_fma_f16 v4, v18, s6, v4
	v_fma_f16 v17, v17, -0.5, v3
	v_sub_f16_e32 v18, v22, v40
	v_fma_f16 v4, v20, s8, v4
	v_fma_f16 v20, v18, s9, v17
	v_sub_f16_e32 v22, v23, v35
	v_sub_f16_e32 v23, v15, v19
	;; [unrolled: 1-line block ×3, first 2 shown]
	v_fma_f16 v17, v18, s7, v17
	v_add_f16_e32 v23, v23, v24
	v_fma_f16 v17, v22, s6, v17
	v_add_f16_e32 v2, v2, v46
	;; [unrolled: 2-line block ×3, first 2 shown]
	v_fma_f16 v3, v17, -0.5, v3
	v_fma_f16 v17, v22, s7, v3
	v_sub_f16_e32 v15, v19, v15
	v_sub_f16_e32 v16, v16, v21
	v_fma_f16 v3, v22, s9, v3
	v_fma_f16 v20, v22, s10, v20
	v_fma_f16 v17, v18, s10, v17
	v_add_f16_e32 v15, v15, v16
	v_fma_f16 v3, v18, s6, v3
	v_fma_f16 v40, v23, s8, v20
	;; [unrolled: 1-line block ×4, first 2 shown]
	s_waitcnt lgkmcnt(0)
	s_barrier
	ds_read_u16 v15, v11
	ds_read_u16 v20, v11 offset:160
	ds_read_u16 v21, v11 offset:320
	;; [unrolled: 1-line block ×15, first 2 shown]
	s_waitcnt lgkmcnt(0)
	s_barrier
	ds_write_b16 v5, v2
	ds_write_b16 v5, v41 offset:32
	ds_write_b16 v5, v38 offset:64
	ds_write_b16 v5, v8 offset:96
	ds_write_b16 v5, v47 offset:128
	ds_write_b16 v6, v43
	ds_write_b16 v6, v39 offset:32
	ds_write_b16 v6, v44 offset:64
	ds_write_b16 v6, v4 offset:96
	ds_write_b16 v6, v42 offset:128
	;; [unrolled: 5-line block ×3, first 2 shown]
	s_and_saveexec_b64 s[2:3], vcc
	s_cbranch_execz .LBB0_19
; %bb.18:
	v_add_f16_e32 v3, v27, v28
	v_fma_f16 v3, v3, -0.5, v1
	v_sub_f16_e32 v4, v31, v34
	s_movk_i32 s6, 0x3b9c
	s_mov_b32 s9, 0xbb9c
	v_fma_f16 v5, v4, s6, v3
	v_sub_f16_e32 v6, v30, v33
	s_movk_i32 s7, 0x38b4
	v_sub_f16_e32 v7, v9, v27
	v_sub_f16_e32 v8, v10, v28
	v_fma_f16 v3, v4, s9, v3
	s_mov_b32 s10, 0xb8b4
	v_fma_f16 v5, v6, s7, v5
	v_add_f16_e32 v7, v7, v8
	v_fma_f16 v3, v6, s10, v3
	v_add_f16_e32 v2, v1, v9
	v_fma_f16 v5, v7, s8, v5
	v_fma_f16 v3, v7, s8, v3
	v_add_f16_e32 v7, v9, v10
	v_add_f16_e32 v2, v2, v27
	v_fma_f16 v1, v7, -0.5, v1
	v_add_f16_e32 v2, v2, v28
	v_fma_f16 v7, v6, s9, v1
	v_sub_f16_e32 v8, v27, v9
	v_sub_f16_e32 v9, v28, v10
	v_fma_f16 v1, v6, s6, v1
	v_add_f16_e32 v2, v2, v10
	v_fma_f16 v7, v4, s7, v7
	v_add_f16_e32 v8, v8, v9
	v_fma_f16 v1, v4, s10, v1
	v_fma_f16 v7, v8, s8, v7
	;; [unrolled: 1-line block ×3, first 2 shown]
	ds_write_b16 v36, v2 offset:2400
	ds_write_b16 v36, v5 offset:2432
	;; [unrolled: 1-line block ×5, first 2 shown]
.LBB0_19:
	s_or_b64 exec, exec, s[2:3]
	s_waitcnt lgkmcnt(0)
	s_barrier
	s_and_saveexec_b64 s[2:3], s[0:1]
	s_cbranch_execz .LBB0_21
; %bb.20:
	v_mul_u32_u24_e32 v0, 15, v0
	v_lshlrev_b32_e32 v27, 2, v0
	global_load_dwordx4 v[38:41], v27, s[4:5] offset:272
	global_load_dwordx4 v[4:7], v27, s[4:5] offset:256
	;; [unrolled: 1-line block ×3, first 2 shown]
	global_load_dwordx3 v[8:10], v27, s[4:5] offset:304
	ds_read_u16 v27, v11 offset:1440
	ds_read_u16 v28, v36 offset:480
	;; [unrolled: 1-line block ×9, first 2 shown]
	s_mov_b32 s0, 0xb9a8
	s_movk_i32 s1, 0x39a8
	s_movk_i32 s3, 0x3b64
	s_mov_b32 s5, 0xb61f
	s_movk_i32 s2, 0x361f
	s_mov_b32 s4, 0xbb64
	s_waitcnt vmcnt(3)
	v_lshrrev_b32_e32 v44, 16, v38
	v_lshrrev_b32_e32 v45, 16, v39
	;; [unrolled: 1-line block ×4, first 2 shown]
	v_mul_f16_e32 v48, v32, v38
	v_mul_f16_e32 v49, v37, v40
	;; [unrolled: 1-line block ×8, first 2 shown]
	s_waitcnt lgkmcnt(2)
	v_fma_f16 v37, v36, v40, -v37
	s_waitcnt lgkmcnt(1)
	v_fma_f16 v35, v42, v39, -v35
	;; [unrolled: 2-line block ×3, first 2 shown]
	v_fma_f16 v29, v34, v41, -v29
	ds_read_u16 v38, v11 offset:2080
	ds_read_u16 v39, v11 offset:1920
	;; [unrolled: 1-line block ×4, first 2 shown]
	v_fma_f16 v34, v34, v47, v51
	s_waitcnt vmcnt(2)
	v_mul_f16_sdwa v51, v26, v6 dst_sel:DWORD dst_unused:UNUSED_PAD src0_sel:DWORD src1_sel:WORD_1
	v_fma_f16 v36, v36, v46, v49
	ds_read_u16 v46, v11 offset:640
	ds_read_u16 v49, v11 offset:160
	ds_read_u16 v11, v11
	v_fma_f16 v51, v28, v6, -v51
	v_mul_f16_sdwa v28, v28, v6 dst_sel:DWORD dst_unused:UNUSED_PAD src0_sel:DWORD src1_sel:WORD_1
	v_fma_f16 v6, v26, v6, v28
	s_waitcnt vmcnt(1)
	v_mul_f16_sdwa v26, v24, v2 dst_sel:DWORD dst_unused:UNUSED_PAD src0_sel:DWORD src1_sel:WORD_1
	v_fma_f16 v42, v42, v45, v50
	s_waitcnt vmcnt(0)
	v_lshrrev_b32_e32 v45, 16, v8
	v_lshrrev_b32_e32 v47, 16, v10
	s_waitcnt lgkmcnt(4)
	v_fma_f16 v26, v40, v2, -v26
	v_mul_f16_sdwa v28, v40, v2 dst_sel:DWORD dst_unused:UNUSED_PAD src0_sel:DWORD src1_sel:WORD_1
	v_mul_f16_e32 v40, v22, v8
	v_fma_f16 v43, v43, v44, v48
	v_mul_f16_sdwa v44, v20, v4 dst_sel:DWORD dst_unused:UNUSED_PAD src0_sel:DWORD src1_sel:WORD_1
	v_lshrrev_b32_e32 v50, 16, v9
	v_fma_f16 v2, v24, v2, v28
	v_mul_f16_e32 v24, v25, v10
	v_mul_f16_e32 v25, v25, v47
	v_fma_f16 v40, v38, v45, v40
	v_mul_f16_e32 v22, v22, v45
	v_mul_f16_sdwa v45, v21, v5 dst_sel:DWORD dst_unused:UNUSED_PAD src0_sel:DWORD src1_sel:WORD_1
	v_mul_f16_sdwa v48, v16, v0 dst_sel:DWORD dst_unused:UNUSED_PAD src0_sel:DWORD src1_sel:WORD_1
	v_fma_f16 v24, v31, v47, v24
	v_mul_f16_e32 v28, v23, v9
	v_mul_f16_e32 v23, v23, v50
	v_fma_f16 v10, v31, v10, -v25
	s_waitcnt lgkmcnt(1)
	v_fma_f16 v31, v49, v4, -v44
	v_fma_f16 v44, v30, v5, -v45
	v_mul_f16_sdwa v30, v30, v5 dst_sel:DWORD dst_unused:UNUSED_PAD src0_sel:DWORD src1_sel:WORD_1
	v_fma_f16 v28, v33, v50, v28
	v_fma_f16 v9, v33, v9, -v23
	v_fma_f16 v33, v27, v0, -v48
	v_fma_f16 v5, v21, v5, v30
	v_mul_f16_sdwa v30, v49, v4 dst_sel:DWORD dst_unused:UNUSED_PAD src0_sel:DWORD src1_sel:WORD_1
	v_mul_f16_sdwa v27, v27, v0 dst_sel:DWORD dst_unused:UNUSED_PAD src0_sel:DWORD src1_sel:WORD_1
	;; [unrolled: 1-line block ×3, first 2 shown]
	v_sub_f16_e32 v33, v31, v33
	v_sub_f16_e32 v40, v43, v40
	;; [unrolled: 1-line block ×4, first 2 shown]
	v_fma_f16 v8, v38, v8, -v22
	v_fma_f16 v4, v20, v4, v30
	v_fma_f16 v0, v16, v0, v27
	v_mul_f16_sdwa v23, v19, v7 dst_sel:DWORD dst_unused:UNUSED_PAD src0_sel:DWORD src1_sel:WORD_1
	v_fma_f16 v25, v41, v1, -v25
	v_sub_f16_e32 v2, v6, v2
	v_sub_f16_e32 v22, v33, v40
	;; [unrolled: 1-line block ×4, first 2 shown]
	v_mul_f16_sdwa v48, v17, v3 dst_sel:DWORD dst_unused:UNUSED_PAD src0_sel:DWORD src1_sel:WORD_1
	v_mul_f16_sdwa v41, v41, v1 dst_sel:DWORD dst_unused:UNUSED_PAD src0_sel:DWORD src1_sel:WORD_1
	v_sub_f16_e32 v0, v4, v0
	v_sub_f16_e32 v8, v32, v8
	v_fma_f16 v23, v46, v7, -v23
	v_fma_f16 v47, v33, 2.0, -v22
	v_fma_f16 v21, v26, 2.0, -v38
	v_add_f16_e32 v20, v2, v10
	v_mul_f16_sdwa v30, v46, v7 dst_sel:DWORD dst_unused:UNUSED_PAD src0_sel:DWORD src1_sel:WORD_1
	v_fma_f16 v48, v39, v3, -v48
	v_fma_f16 v1, v18, v1, v41
	v_mul_f16_sdwa v27, v39, v3 dst_sel:DWORD dst_unused:UNUSED_PAD src0_sel:DWORD src1_sel:WORD_1
	v_add_f16_e32 v39, v0, v8
	v_sub_f16_e32 v34, v15, v34
	v_fma_f16 v7, v19, v7, v30
	v_fma_f16 v30, v21, s0, v47
	v_fma_f16 v46, v2, 2.0, -v20
	v_sub_f16_e32 v48, v23, v48
	v_sub_f16_e32 v1, v5, v1
	;; [unrolled: 1-line block ×3, first 2 shown]
	v_fma_f16 v3, v17, v3, v27
	v_fma_f16 v49, v0, 2.0, -v39
	v_sub_f16_e32 v25, v44, v25
	v_sub_f16_e32 v28, v42, v28
	v_fma_f16 v30, v46, s0, v30
	v_add_f16_e32 v18, v34, v48
	v_add_f16_e32 v16, v1, v9
	v_fma_f16 v46, v46, s0, v49
	s_waitcnt lgkmcnt(0)
	v_sub_f16_e32 v29, v11, v29
	v_sub_f16_e32 v3, v7, v3
	;; [unrolled: 1-line block ×3, first 2 shown]
	v_fma_f16 v41, v34, 2.0, -v18
	v_fma_f16 v17, v1, 2.0, -v16
	v_fma_f16 v21, v21, s1, v46
	v_sub_f16_e32 v46, v29, v3
	v_fma_f16 v19, v25, 2.0, -v45
	v_fma_f16 v27, v17, s0, v41
	v_fma_f16 v50, v29, 2.0, -v46
	v_fma_f16 v27, v19, s1, v27
	v_fma_f16 v19, v19, s0, v50
	v_fma_f16 v17, v17, s0, v19
	v_fma_f16 v19, v38, s1, v22
	v_fma_f16 v19, v20, s0, v19
	v_fma_f16 v20, v20, s1, v39
	v_fma_f16 v20, v38, s1, v20
	v_fma_f16 v38, v16, s1, v18
	v_fma_f16 v38, v45, s1, v38
	v_fma_f16 v45, v45, s1, v46
	v_fma_f16 v16, v16, s0, v45
	v_fma_f16 v24, v36, 2.0, -v24
	v_fma_f16 v36, v19, s3, v16
	v_fma_f16 v15, v15, 2.0, -v34
	v_fma_f16 v3, v7, 2.0, -v3
	;; [unrolled: 1-line block ×10, first 2 shown]
	v_fma_f16 v32, v20, s3, v38
	v_fma_f16 v2, v6, 2.0, -v2
	v_fma_f16 v36, v20, s5, v36
	v_sub_f16_e32 v3, v15, v3
	v_sub_f16_e32 v9, v25, v9
	;; [unrolled: 1-line block ×4, first 2 shown]
	v_fma_f16 v11, v11, 2.0, -v29
	v_fma_f16 v23, v23, 2.0, -v48
	;; [unrolled: 1-line block ×6, first 2 shown]
	v_fma_f16 v32, v19, s2, v32
	v_fma_f16 v34, v16, 2.0, -v36
	v_sub_f16_e32 v8, v31, v8
	v_sub_f16_e32 v24, v2, v24
	v_add_f16_e32 v35, v9, v3
	v_add_f16_e32 v37, v4, v10
	v_sub_f16_e32 v23, v11, v23
	v_sub_f16_e32 v5, v1, v5
	v_fma_f16 v19, v22, 2.0, -v19
	v_fma_f16 v22, v20, s5, v18
	v_fma_f16 v16, v46, 2.0, -v16
	v_sub_f16_e32 v7, v8, v24
	v_fma_f16 v40, v37, s1, v35
	v_sub_f16_e32 v28, v23, v5
	v_fma_f16 v15, v15, 2.0, -v3
	v_fma_f16 v0, v0, 2.0, -v4
	v_fma_f16 v22, v19, s3, v22
	v_fma_f16 v19, v19, s5, v16
	v_fma_f16 v3, v3, 2.0, -v35
	v_fma_f16 v4, v4, 2.0, -v37
	v_fma_f16 v40, v7, s1, v40
	v_fma_f16 v29, v7, s1, v28
	v_fma_f16 v1, v1, 2.0, -v5
	v_fma_f16 v5, v31, 2.0, -v8
	v_fma_f16 v19, v20, s4, v19
	v_fma_f16 v7, v8, 2.0, -v7
	v_fma_f16 v8, v4, s0, v3
	v_fma_f16 v20, v23, 2.0, -v28
	v_fma_f16 v10, v26, 2.0, -v10
	v_fma_f16 v8, v7, s1, v8
	v_fma_f16 v7, v7, s0, v20
	;; [unrolled: 1-line block ×4, first 2 shown]
	v_sub_f16_e32 v1, v15, v1
	v_sub_f16_e32 v10, v5, v10
	v_fma_f16 v2, v2, 2.0, -v24
	v_fma_f16 v4, v4, s0, v7
	v_fma_f16 v45, v30, s3, v45
	;; [unrolled: 1-line block ×3, first 2 shown]
	v_add_f16_e32 v26, v10, v1
	v_fma_f16 v11, v11, 2.0, -v23
	v_fma_f16 v9, v25, 2.0, -v9
	v_sub_f16_e32 v2, v0, v2
	v_fma_f16 v7, v20, 2.0, -v4
	v_fma_f16 v20, v41, 2.0, -v27
	;; [unrolled: 1-line block ×6, first 2 shown]
	v_sub_f16_e32 v9, v11, v9
	v_fma_f16 v23, v47, 2.0, -v30
	v_fma_f16 v27, v21, s4, v20
	v_fma_f16 v17, v50, 2.0, -v17
	v_fma_f16 v1, v15, 2.0, -v1
	;; [unrolled: 1-line block ×3, first 2 shown]
	v_sub_f16_e32 v24, v9, v2
	v_fma_f16 v27, v23, s2, v27
	v_fma_f16 v23, v23, s4, v17
	v_sub_f16_e32 v2, v1, v0
	v_fma_f16 v21, v21, s5, v23
	v_fma_f16 v23, v1, 2.0, -v2
	v_fma_f16 v0, v11, 2.0, -v9
	;; [unrolled: 1-line block ×4, first 2 shown]
	v_sub_f16_e32 v5, v0, v1
	v_mov_b32_e32 v15, 0
	v_fma_f16 v25, v9, 2.0, -v24
	v_fma_f16 v18, v18, 2.0, -v22
	;; [unrolled: 1-line block ×4, first 2 shown]
	v_lshl_add_u64 v[0:1], v[14:15], 2, v[12:13]
	v_pack_b32_f16 v3, v3, v7
	global_store_dword v[0:1], v3, off offset:640
	v_pack_b32_f16 v3, v18, v16
	v_pack_b32_f16 v2, v2, v5
	v_fma_f16 v29, v37, s0, v29
	global_store_dword v[0:1], v3, off offset:960
	v_pack_b32_f16 v3, v31, v25
	global_store_dword v[0:1], v2, off offset:2560
	v_pack_b32_f16 v2, v27, v21
	v_fma_f16 v44, v35, 2.0, -v40
	v_fma_f16 v48, v28, 2.0, -v29
	global_store_dword v[0:1], v3, off offset:1280
	v_pack_b32_f16 v3, v42, v43
	global_store_dword v[0:1], v2, off offset:2880
	v_pack_b32_f16 v2, v8, v4
	v_fma_f16 v6, v38, 2.0, -v32
	v_fma_f16 v20, v20, 2.0, -v27
	;; [unrolled: 1-line block ×3, first 2 shown]
	v_pack_b32_f16 v9, v23, v9
	global_store_dword v[0:1], v3, off offset:1600
	v_pack_b32_f16 v3, v44, v48
	global_store_dword v[0:1], v2, off offset:3200
	v_pack_b32_f16 v2, v22, v19
	global_store_dword v[0:1], v9, off
	v_pack_b32_f16 v9, v20, v17
	global_store_dword v[0:1], v3, off offset:1920
	v_pack_b32_f16 v3, v6, v34
	global_store_dword v[0:1], v2, off offset:3520
	v_pack_b32_f16 v2, v26, v24
	global_store_dword v[0:1], v9, off offset:320
	global_store_dword v[0:1], v3, off offset:2240
	global_store_dword v[0:1], v2, off offset:3840
	v_add_co_u32_e32 v0, vcc, 0x1000, v0
	v_pack_b32_f16 v2, v45, v33
	s_nop 0
	v_addc_co_u32_e32 v1, vcc, 0, v1, vcc
	global_store_dword v[0:1], v2, off offset:64
	v_pack_b32_f16 v2, v40, v29
	global_store_dword v[0:1], v2, off offset:384
	v_pack_b32_f16 v2, v32, v36
	global_store_dword v[0:1], v2, off offset:704
.LBB0_21:
	s_endpgm
	.section	.rodata,"a",@progbits
	.p2align	6, 0x0
	.amdhsa_kernel fft_rtc_back_len1280_factors_16_5_16_wgs_80_tpt_80_halfLds_half_ip_CI_unitstride_sbrr_dirReg
		.amdhsa_group_segment_fixed_size 0
		.amdhsa_private_segment_fixed_size 0
		.amdhsa_kernarg_size 88
		.amdhsa_user_sgpr_count 2
		.amdhsa_user_sgpr_dispatch_ptr 0
		.amdhsa_user_sgpr_queue_ptr 0
		.amdhsa_user_sgpr_kernarg_segment_ptr 1
		.amdhsa_user_sgpr_dispatch_id 0
		.amdhsa_user_sgpr_kernarg_preload_length 0
		.amdhsa_user_sgpr_kernarg_preload_offset 0
		.amdhsa_user_sgpr_private_segment_size 0
		.amdhsa_uses_dynamic_stack 0
		.amdhsa_enable_private_segment 0
		.amdhsa_system_sgpr_workgroup_id_x 1
		.amdhsa_system_sgpr_workgroup_id_y 0
		.amdhsa_system_sgpr_workgroup_id_z 0
		.amdhsa_system_sgpr_workgroup_info 0
		.amdhsa_system_vgpr_workitem_id 0
		.amdhsa_next_free_vgpr 65
		.amdhsa_next_free_sgpr 22
		.amdhsa_accum_offset 68
		.amdhsa_reserve_vcc 1
		.amdhsa_float_round_mode_32 0
		.amdhsa_float_round_mode_16_64 0
		.amdhsa_float_denorm_mode_32 3
		.amdhsa_float_denorm_mode_16_64 3
		.amdhsa_dx10_clamp 1
		.amdhsa_ieee_mode 1
		.amdhsa_fp16_overflow 0
		.amdhsa_tg_split 0
		.amdhsa_exception_fp_ieee_invalid_op 0
		.amdhsa_exception_fp_denorm_src 0
		.amdhsa_exception_fp_ieee_div_zero 0
		.amdhsa_exception_fp_ieee_overflow 0
		.amdhsa_exception_fp_ieee_underflow 0
		.amdhsa_exception_fp_ieee_inexact 0
		.amdhsa_exception_int_div_zero 0
	.end_amdhsa_kernel
	.text
.Lfunc_end0:
	.size	fft_rtc_back_len1280_factors_16_5_16_wgs_80_tpt_80_halfLds_half_ip_CI_unitstride_sbrr_dirReg, .Lfunc_end0-fft_rtc_back_len1280_factors_16_5_16_wgs_80_tpt_80_halfLds_half_ip_CI_unitstride_sbrr_dirReg
                                        ; -- End function
	.section	.AMDGPU.csdata,"",@progbits
; Kernel info:
; codeLenInByte = 7828
; NumSgprs: 28
; NumVgprs: 65
; NumAgprs: 0
; TotalNumVgprs: 65
; ScratchSize: 0
; MemoryBound: 0
; FloatMode: 240
; IeeeMode: 1
; LDSByteSize: 0 bytes/workgroup (compile time only)
; SGPRBlocks: 3
; VGPRBlocks: 8
; NumSGPRsForWavesPerEU: 28
; NumVGPRsForWavesPerEU: 65
; AccumOffset: 68
; Occupancy: 7
; WaveLimiterHint : 1
; COMPUTE_PGM_RSRC2:SCRATCH_EN: 0
; COMPUTE_PGM_RSRC2:USER_SGPR: 2
; COMPUTE_PGM_RSRC2:TRAP_HANDLER: 0
; COMPUTE_PGM_RSRC2:TGID_X_EN: 1
; COMPUTE_PGM_RSRC2:TGID_Y_EN: 0
; COMPUTE_PGM_RSRC2:TGID_Z_EN: 0
; COMPUTE_PGM_RSRC2:TIDIG_COMP_CNT: 0
; COMPUTE_PGM_RSRC3_GFX90A:ACCUM_OFFSET: 16
; COMPUTE_PGM_RSRC3_GFX90A:TG_SPLIT: 0
	.text
	.p2alignl 6, 3212836864
	.fill 256, 4, 3212836864
	.type	__hip_cuid_8b3d9b4fdd5537bd,@object ; @__hip_cuid_8b3d9b4fdd5537bd
	.section	.bss,"aw",@nobits
	.globl	__hip_cuid_8b3d9b4fdd5537bd
__hip_cuid_8b3d9b4fdd5537bd:
	.byte	0                               ; 0x0
	.size	__hip_cuid_8b3d9b4fdd5537bd, 1

	.ident	"AMD clang version 19.0.0git (https://github.com/RadeonOpenCompute/llvm-project roc-6.4.0 25133 c7fe45cf4b819c5991fe208aaa96edf142730f1d)"
	.section	".note.GNU-stack","",@progbits
	.addrsig
	.addrsig_sym __hip_cuid_8b3d9b4fdd5537bd
	.amdgpu_metadata
---
amdhsa.kernels:
  - .agpr_count:     0
    .args:
      - .actual_access:  read_only
        .address_space:  global
        .offset:         0
        .size:           8
        .value_kind:     global_buffer
      - .offset:         8
        .size:           8
        .value_kind:     by_value
      - .actual_access:  read_only
        .address_space:  global
        .offset:         16
        .size:           8
        .value_kind:     global_buffer
      - .actual_access:  read_only
        .address_space:  global
        .offset:         24
        .size:           8
        .value_kind:     global_buffer
      - .offset:         32
        .size:           8
        .value_kind:     by_value
      - .actual_access:  read_only
        .address_space:  global
        .offset:         40
        .size:           8
        .value_kind:     global_buffer
      - .actual_access:  read_only
        .address_space:  global
        .offset:         48
        .size:           8
        .value_kind:     global_buffer
      - .offset:         56
        .size:           4
        .value_kind:     by_value
      - .actual_access:  read_only
        .address_space:  global
        .offset:         64
        .size:           8
        .value_kind:     global_buffer
      - .actual_access:  read_only
        .address_space:  global
        .offset:         72
        .size:           8
        .value_kind:     global_buffer
      - .address_space:  global
        .offset:         80
        .size:           8
        .value_kind:     global_buffer
    .group_segment_fixed_size: 0
    .kernarg_segment_align: 8
    .kernarg_segment_size: 88
    .language:       OpenCL C
    .language_version:
      - 2
      - 0
    .max_flat_workgroup_size: 80
    .name:           fft_rtc_back_len1280_factors_16_5_16_wgs_80_tpt_80_halfLds_half_ip_CI_unitstride_sbrr_dirReg
    .private_segment_fixed_size: 0
    .sgpr_count:     28
    .sgpr_spill_count: 0
    .symbol:         fft_rtc_back_len1280_factors_16_5_16_wgs_80_tpt_80_halfLds_half_ip_CI_unitstride_sbrr_dirReg.kd
    .uniform_work_group_size: 1
    .uses_dynamic_stack: false
    .vgpr_count:     65
    .vgpr_spill_count: 0
    .wavefront_size: 64
amdhsa.target:   amdgcn-amd-amdhsa--gfx950
amdhsa.version:
  - 1
  - 2
...

	.end_amdgpu_metadata
